;; amdgpu-corpus repo=zjin-lcf/HeCBench kind=compiled arch=gfx90a opt=O3
	.text
	.amdgcn_target "amdgcn-amd-amdhsa--gfx90a"
	.amdhsa_code_object_version 6
	.section	.text._Z13surfel_renderIfEvPKT_iS0_iiPS0_,"axG",@progbits,_Z13surfel_renderIfEvPKT_iS0_iiPS0_,comdat
	.protected	_Z13surfel_renderIfEvPKT_iS0_iiPS0_ ; -- Begin function _Z13surfel_renderIfEvPKT_iS0_iiPS0_
	.globl	_Z13surfel_renderIfEvPKT_iS0_iiPS0_
	.p2align	8
	.type	_Z13surfel_renderIfEvPKT_iS0_iiPS0_,@function
_Z13surfel_renderIfEvPKT_iS0_iiPS0_:    ; @_Z13surfel_renderIfEvPKT_iS0_iiPS0_
; %bb.0:
	s_load_dword s0, s[4:5], 0x2c
	s_load_dwordx4 s[8:11], s[4:5], 0x8
	v_and_b32_e32 v1, 0x3ff, v0
	v_bfe_u32 v0, v0, 10, 10
	s_waitcnt lgkmcnt(0)
	s_and_b32 s1, s0, 0xffff
	s_lshr_b32 s0, s0, 16
	s_mul_i32 s7, s7, s0
	s_mul_i32 s6, s6, s1
	v_add_u32_e32 v2, s6, v1
	v_add_u32_e32 v3, s7, v0
	v_cmp_gt_i32_e32 vcc, s10, v2
	v_cmp_gt_i32_e64 s[0:1], s11, v3
	s_and_b64 s[0:1], vcc, s[0:1]
	s_and_saveexec_b64 s[2:3], s[0:1]
	s_cbranch_execz .LBB0_6
; %bb.1:
	s_load_dwordx2 s[2:3], s[4:5], 0x18
	s_cmp_lt_i32 s8, 1
	s_cbranch_scc1 .LBB0_4
; %bb.2:
	s_load_dwordx2 s[0:1], s[4:5], 0x0
	s_add_i32 s4, s10, -1
	s_add_i32 s5, s11, -1
	v_cvt_f32_i32_e32 v1, v3
	v_cvt_f32_i32_e32 v0, v2
	;; [unrolled: 1-line block ×4, first 2 shown]
	s_waitcnt lgkmcnt(0)
	s_add_u32 s4, s0, 12
	s_addc_u32 s5, s1, 0
	v_pk_fma_f32 v[0:1], -0.5, v[4:5], v[0:1] op_sel_hi:[0,1,1]
	v_mov_b32_e32 v4, 0x60ad78ec
	v_mov_b32_e32 v5, s9
.LBB0_3:                                ; =>This Inner Loop Header: Depth=1
	s_add_u32 s0, s4, -12
	s_addc_u32 s1, s5, -1
	s_load_dword s11, s[4:5], 0xc
	s_load_dwordx4 s[12:15], s[0:1], 0x0
	s_load_dwordx2 s[6:7], s[4:5], 0x4
	s_add_i32 s8, s8, -1
	s_waitcnt lgkmcnt(0)
	s_mov_b32 s0, s13
	s_mov_b32 s1, s14
	v_pk_mov_b32 v[6:7], s[6:7], s[6:7] op_sel:[0,1]
	s_mov_b32 s16, s15
	s_mov_b32 s17, s6
	v_mov_b32_e32 v8, s15
	v_pk_mul_f32 v[6:7], s[0:1], v[6:7]
	v_pk_mul_f32 v[12:13], v[0:1], s[16:17]
	v_mul_f32_e32 v10, s12, v8
	v_mov_b32_e32 v11, v12
	v_mov_b32_e32 v12, v6
	v_mul_f32_e32 v9, s7, v5
	v_mov_b32_e32 v8, v7
	v_pk_add_f32 v[6:7], v[10:11], v[12:13]
	v_pk_add_f32 v[6:7], v[6:7], v[8:9]
	v_div_scale_f32 v8, s[0:1], v7, v7, v6
	v_rcp_f32_e32 v10, v8
	v_div_scale_f32 v9, vcc, v6, v7, v6
	v_fma_f32 v11, -v8, v10, 1.0
	v_fmac_f32_e32 v10, v11, v10
	v_mul_f32_e32 v11, v9, v10
	v_fma_f32 v12, -v8, v11, v9
	v_fmac_f32_e32 v11, v12, v10
	v_fma_f32 v8, -v8, v11, v9
	v_div_fmas_f32 v8, v8, v10, v11
	v_div_fixup_f32 v6, v8, v7, v6
	v_fma_f32 v8, v1, v6, -s13
	v_fma_f32 v7, v0, v6, -s12
	v_mul_f32_e32 v6, s9, v6
	v_mul_f32_e32 v8, v8, v8
	v_subrev_f32_e32 v9, s14, v6
	v_fmac_f32_e32 v8, v7, v7
	v_fmac_f32_e32 v8, v9, v9
	v_cmp_gt_f32_e32 vcc, v4, v6
	v_cmp_gt_f32_e64 s[0:1], s11, v8
	s_and_b64 vcc, s[0:1], vcc
	s_add_u32 s4, s4, 28
	s_addc_u32 s5, s5, 0
	s_cmp_eq_u32 s8, 0
	v_cndmask_b32_e32 v4, v4, v6, vcc
	s_cbranch_scc0 .LBB0_3
	s_branch .LBB0_5
.LBB0_4:
	v_mov_b32_e32 v4, 0x60ad78ec
.LBB0_5:
	s_mov_b32 s0, 0x42c80000
	v_cmp_nlt_f32_e32 vcc, s0, v4
	v_mad_u64_u32 v[0:1], s[0:1], v3, s10, v[2:3]
	v_ashrrev_i32_e32 v1, 31, v0
	v_lshlrev_b64 v[0:1], 2, v[0:1]
	v_cndmask_b32_e32 v4, 0, v4, vcc
	s_waitcnt lgkmcnt(0)
	v_mov_b32_e32 v2, s3
	v_add_co_u32_e32 v0, vcc, s2, v0
	v_addc_co_u32_e32 v1, vcc, v2, v1, vcc
	global_store_dword v[0:1], v4, off
.LBB0_6:
	s_endpgm
	.section	.rodata,"a",@progbits
	.p2align	6, 0x0
	.amdhsa_kernel _Z13surfel_renderIfEvPKT_iS0_iiPS0_
		.amdhsa_group_segment_fixed_size 0
		.amdhsa_private_segment_fixed_size 0
		.amdhsa_kernarg_size 288
		.amdhsa_user_sgpr_count 6
		.amdhsa_user_sgpr_private_segment_buffer 1
		.amdhsa_user_sgpr_dispatch_ptr 0
		.amdhsa_user_sgpr_queue_ptr 0
		.amdhsa_user_sgpr_kernarg_segment_ptr 1
		.amdhsa_user_sgpr_dispatch_id 0
		.amdhsa_user_sgpr_flat_scratch_init 0
		.amdhsa_user_sgpr_kernarg_preload_length 0
		.amdhsa_user_sgpr_kernarg_preload_offset 0
		.amdhsa_user_sgpr_private_segment_size 0
		.amdhsa_uses_dynamic_stack 0
		.amdhsa_system_sgpr_private_segment_wavefront_offset 0
		.amdhsa_system_sgpr_workgroup_id_x 1
		.amdhsa_system_sgpr_workgroup_id_y 1
		.amdhsa_system_sgpr_workgroup_id_z 0
		.amdhsa_system_sgpr_workgroup_info 0
		.amdhsa_system_vgpr_workitem_id 1
		.amdhsa_next_free_vgpr 14
		.amdhsa_next_free_sgpr 18
		.amdhsa_accum_offset 16
		.amdhsa_reserve_vcc 1
		.amdhsa_reserve_flat_scratch 0
		.amdhsa_float_round_mode_32 0
		.amdhsa_float_round_mode_16_64 0
		.amdhsa_float_denorm_mode_32 3
		.amdhsa_float_denorm_mode_16_64 3
		.amdhsa_dx10_clamp 1
		.amdhsa_ieee_mode 1
		.amdhsa_fp16_overflow 0
		.amdhsa_tg_split 0
		.amdhsa_exception_fp_ieee_invalid_op 0
		.amdhsa_exception_fp_denorm_src 0
		.amdhsa_exception_fp_ieee_div_zero 0
		.amdhsa_exception_fp_ieee_overflow 0
		.amdhsa_exception_fp_ieee_underflow 0
		.amdhsa_exception_fp_ieee_inexact 0
		.amdhsa_exception_int_div_zero 0
	.end_amdhsa_kernel
	.section	.text._Z13surfel_renderIfEvPKT_iS0_iiPS0_,"axG",@progbits,_Z13surfel_renderIfEvPKT_iS0_iiPS0_,comdat
.Lfunc_end0:
	.size	_Z13surfel_renderIfEvPKT_iS0_iiPS0_, .Lfunc_end0-_Z13surfel_renderIfEvPKT_iS0_iiPS0_
                                        ; -- End function
	.section	.AMDGPU.csdata,"",@progbits
; Kernel info:
; codeLenInByte = 508
; NumSgprs: 22
; NumVgprs: 14
; NumAgprs: 0
; TotalNumVgprs: 14
; ScratchSize: 0
; MemoryBound: 0
; FloatMode: 240
; IeeeMode: 1
; LDSByteSize: 0 bytes/workgroup (compile time only)
; SGPRBlocks: 2
; VGPRBlocks: 1
; NumSGPRsForWavesPerEU: 22
; NumVGPRsForWavesPerEU: 14
; AccumOffset: 16
; Occupancy: 8
; WaveLimiterHint : 0
; COMPUTE_PGM_RSRC2:SCRATCH_EN: 0
; COMPUTE_PGM_RSRC2:USER_SGPR: 6
; COMPUTE_PGM_RSRC2:TRAP_HANDLER: 0
; COMPUTE_PGM_RSRC2:TGID_X_EN: 1
; COMPUTE_PGM_RSRC2:TGID_Y_EN: 1
; COMPUTE_PGM_RSRC2:TGID_Z_EN: 0
; COMPUTE_PGM_RSRC2:TIDIG_COMP_CNT: 1
; COMPUTE_PGM_RSRC3_GFX90A:ACCUM_OFFSET: 3
; COMPUTE_PGM_RSRC3_GFX90A:TG_SPLIT: 0
	.section	.text._Z18surfel_render_tileIfLi256EEvPKT_iS0_iiPS0_,"axG",@progbits,_Z18surfel_render_tileIfLi256EEvPKT_iS0_iiPS0_,comdat
	.protected	_Z18surfel_render_tileIfLi256EEvPKT_iS0_iiPS0_ ; -- Begin function _Z18surfel_render_tileIfLi256EEvPKT_iS0_iiPS0_
	.globl	_Z18surfel_render_tileIfLi256EEvPKT_iS0_iiPS0_
	.p2align	8
	.type	_Z18surfel_render_tileIfLi256EEvPKT_iS0_iiPS0_,@function
_Z18surfel_render_tileIfLi256EEvPKT_iS0_iiPS0_: ; @_Z18surfel_render_tileIfLi256EEvPKT_iS0_iiPS0_
; %bb.0:
	s_load_dword s0, s[4:5], 0x2c
	s_load_dwordx4 s[8:11], s[4:5], 0x8
	v_and_b32_e32 v4, 0x3ff, v0
	v_bfe_u32 v5, v0, 10, 10
	s_waitcnt lgkmcnt(0)
	s_lshr_b32 s1, s0, 16
	s_and_b32 s2, s0, 0xffff
	s_mul_i32 s7, s7, s1
	s_mul_i32 s6, s6, s2
	v_add_u32_e32 v0, s6, v4
	v_add_u32_e32 v1, s7, v5
	v_cmp_gt_i32_e32 vcc, s10, v0
	v_cmp_gt_i32_e64 s[0:1], s11, v1
	s_and_b64 s[0:1], vcc, s[0:1]
	s_and_saveexec_b64 s[6:7], s[0:1]
	s_cbranch_execz .LBB1_15
; %bb.1:
	s_load_dwordx2 s[6:7], s[4:5], 0x18
	s_cmp_lt_i32 s8, 1
	s_cbranch_scc1 .LBB1_13
; %bb.2:
	s_add_i32 s0, s10, -1
	s_add_i32 s1, s11, -1
	v_cvt_f32_i32_e32 v3, v1
	v_cvt_f32_i32_e32 v2, v0
	;; [unrolled: 1-line block ×4, first 2 shown]
	s_load_dwordx2 s[12:13], s[4:5], 0x0
	s_movk_i32 s0, 0x100
	s_mov_b32 s11, 0
	v_pk_fma_f32 v[2:3], -0.5, v[6:7], v[2:3] op_sel_hi:[0,1,1]
	v_mad_u32_u24 v7, v5, s2, v4
	v_cmp_gt_u32_e64 s[0:1], s0, v7
	v_mul_lo_u32 v8, v7, 28
	v_mov_b32_e32 v6, 0x60ad78ec
	v_mov_b32_e32 v5, 0
	v_mov_b32_e32 v9, 0x100
	s_mov_b32 s14, s8
	s_branch .LBB1_4
.LBB1_3:                                ;   in Loop: Header=BB1_4 Depth=1
	s_addk_i32 s11, 0x100
	s_addk_i32 s14, 0xff00
	s_cmp_ge_i32 s11, s8
	s_cbranch_scc1 .LBB1_14
.LBB1_4:                                ; =>This Loop Header: Depth=1
                                        ;     Child Loop BB1_9 Depth 2
	v_or_b32_e32 v4, s11, v7
	v_cmp_gt_i32_e32 vcc, s8, v4
	s_and_b64 s[4:5], s[0:1], vcc
	s_and_saveexec_b64 s[2:3], s[4:5]
	s_cbranch_execz .LBB1_6
; %bb.5:                                ;   in Loop: Header=BB1_4 Depth=1
	v_mul_lo_u32 v4, v4, 7
	v_lshlrev_b64 v[10:11], 2, v[4:5]
	s_waitcnt lgkmcnt(0)
	v_mov_b32_e32 v4, s13
	v_add_co_u32_e32 v18, vcc, s12, v10
	v_addc_co_u32_e32 v19, vcc, v4, v11, vcc
	global_load_dwordx4 v[10:13], v[18:19], off
	global_load_dwordx3 v[14:16], v[18:19], off offset:16
	s_waitcnt vmcnt(1)
	ds_write2_b32 v8, v10, v11 offset1:1
	ds_write2_b32 v8, v12, v13 offset0:2 offset1:3
	s_waitcnt vmcnt(0)
	ds_write2_b32 v8, v14, v15 offset0:4 offset1:5
	ds_write_b32 v8, v16 offset:24
.LBB1_6:                                ;   in Loop: Header=BB1_4 Depth=1
	s_or_b64 exec, exec, s[2:3]
	s_cmp_ge_i32 s11, s8
	s_waitcnt lgkmcnt(0)
	s_barrier
	s_cbranch_scc1 .LBB1_3
; %bb.7:                                ;   in Loop: Header=BB1_4 Depth=1
	s_cmp_lt_i32 s14, 2
	v_med3_i32 v10, s14, 1, v9
	s_cbranch_scc1 .LBB1_11
; %bb.8:                                ;   in Loop: Header=BB1_4 Depth=1
	v_and_b32_e32 v4, -2, v10
	s_mov_b32 s15, 0
	s_mov_b32 s16, 0
.LBB1_9:                                ;   Parent Loop BB1_4 Depth=1
                                        ; =>  This Inner Loop Header: Depth=2
	v_mov_b32_e32 v11, s15
	ds_read2_b64 v[12:15], v11 offset1:1
	ds_read2_b64 v[16:19], v11 offset0:2 offset1:3
	ds_read2_b64 v[20:23], v11 offset0:5 offset1:6
	ds_read_b64 v[24:25], v11 offset:32
	s_add_i32 s16, s16, 2
	s_waitcnt lgkmcnt(3)
	v_mov_b32_e32 v26, v13
	v_mov_b32_e32 v27, v14
	;; [unrolled: 1-line block ×3, first 2 shown]
	s_waitcnt lgkmcnt(2)
	v_mov_b32_e32 v31, v16
	v_mul_f32_e32 v33, s9, v17
	v_pk_mul_f32 v[30:31], v[2:3], v[30:31]
	v_pk_mul_f32 v[16:17], v[26:27], v[16:17]
	v_mul_f32_e32 v28, v12, v15
	v_mov_b32_e32 v29, v30
	v_mov_b32_e32 v30, v16
	s_waitcnt lgkmcnt(1)
	v_mov_b32_e32 v34, v21
	v_mov_b32_e32 v35, v22
	v_mov_b32_e32 v32, v17
	v_pk_add_f32 v[16:17], v[28:29], v[30:31]
	v_mul_f32_e32 v36, v19, v20
	v_pk_mul_f32 v[20:21], v[2:3], v[20:21]
	s_waitcnt lgkmcnt(0)
	v_pk_mul_f32 v[26:27], v[24:25], v[34:35]
	v_pk_add_f32 v[16:17], v[16:17], v[32:33]
	v_mov_b32_e32 v37, v20
	v_mov_b32_e32 v20, v26
	v_div_scale_f32 v11, s[4:5], v17, v17, v16
	v_mul_f32_e32 v39, s9, v22
	v_mov_b32_e32 v38, v27
	v_pk_add_f32 v[20:21], v[36:37], v[20:21]
	v_rcp_f32_e32 v27, v11
	v_pk_add_f32 v[20:21], v[20:21], v[38:39]
	v_div_scale_f32 v22, s[4:5], v21, v21, v20
	v_rcp_f32_e32 v28, v22
	v_fma_f32 v29, -v11, v27, 1.0
	v_div_scale_f32 v15, vcc, v16, v17, v16
	v_fmac_f32_e32 v27, v29, v27
	v_mul_f32_e32 v29, v15, v27
	v_fma_f32 v30, -v22, v28, 1.0
	v_fma_f32 v31, -v11, v29, v15
	v_div_scale_f32 v26, s[4:5], v20, v21, v20
	v_fmac_f32_e32 v28, v30, v28
	v_fmac_f32_e32 v29, v31, v27
	v_mul_f32_e32 v30, v26, v28
	v_fma_f32 v11, -v11, v29, v15
	v_fma_f32 v32, -v22, v30, v26
	v_div_fmas_f32 v11, v11, v27, v29
	v_fmac_f32_e32 v30, v32, v28
	v_div_fixup_f32 v11, v11, v17, v16
	v_fma_f32 v15, -v22, v30, v26
	s_mov_b64 vcc, s[4:5]
	v_mul_f32_e32 v16, s9, v11
	v_fma_f32 v12, v2, v11, -v12
	v_fma_f32 v11, v3, v11, -v13
	v_div_fmas_f32 v15, v15, v28, v30
	v_mul_f32_e32 v11, v11, v11
	v_div_fixup_f32 v13, v15, v21, v20
	v_sub_f32_e32 v14, v16, v14
	v_fmac_f32_e32 v11, v12, v12
	v_cmp_eq_u32_e64 s[2:3], s16, v4
	v_mul_f32_e32 v15, s9, v13
	v_fma_f32 v17, v2, v13, -v19
	v_fma_f32 v13, v3, v13, -v24
	v_fmac_f32_e32 v11, v14, v14
	s_and_b64 vcc, exec, s[2:3]
	v_cmp_lt_f32_e64 s[2:3], v16, v6
	v_mul_f32_e32 v13, v13, v13
	v_cmp_lt_f32_e64 s[4:5], v11, v18
	v_sub_f32_e32 v12, v15, v25
	v_fmac_f32_e32 v13, v17, v17
	s_and_b64 s[2:3], s[4:5], s[2:3]
	v_fmac_f32_e32 v13, v12, v12
	v_cndmask_b32_e64 v6, v6, v16, s[2:3]
	v_cmp_lt_f32_e64 s[2:3], v13, v23
	v_cmp_lt_f32_e64 s[4:5], v15, v6
	s_and_b64 s[2:3], s[2:3], s[4:5]
	s_add_i32 s15, s15, 56
	v_cndmask_b32_e64 v6, v6, v15, s[2:3]
	s_cbranch_vccz .LBB1_9
; %bb.10:                               ;   in Loop: Header=BB1_4 Depth=1
	v_and_b32_e32 v10, 1, v10
	v_cmp_eq_u32_e32 vcc, 0, v10
	s_cbranch_vccnz .LBB1_3
	s_branch .LBB1_12
.LBB1_11:                               ;   in Loop: Header=BB1_4 Depth=1
	v_mov_b32_e32 v4, 0
	v_and_b32_e32 v10, 1, v10
	v_cmp_eq_u32_e32 vcc, 0, v10
	s_cbranch_vccnz .LBB1_3
.LBB1_12:                               ;   in Loop: Header=BB1_4 Depth=1
	v_mul_lo_u32 v4, v4, 28
	ds_read2_b32 v[10:11], v4 offset1:3
	ds_read2_b32 v[12:13], v4 offset0:3 offset1:4
	ds_read2_b32 v[14:15], v4 offset0:4 offset1:5
	ds_read2_b32 v[16:17], v4 offset0:1 offset1:2
	ds_read_b32 v4, v4 offset:24
	s_waitcnt lgkmcnt(4)
	v_mul_f32_e32 v18, v10, v11
	s_waitcnt lgkmcnt(3)
	v_pk_mul_f32 v[12:13], v[2:3], v[12:13]
	s_waitcnt lgkmcnt(2)
	v_mul_f32_e32 v21, s9, v15
	s_waitcnt lgkmcnt(1)
	v_pk_mul_f32 v[14:15], v[16:17], v[14:15]
	v_mov_b32_e32 v19, v12
	v_mov_b32_e32 v12, v14
	v_pk_add_f32 v[12:13], v[18:19], v[12:13]
	v_mov_b32_e32 v20, v15
	v_pk_add_f32 v[12:13], v[12:13], v[20:21]
	v_div_scale_f32 v11, s[2:3], v13, v13, v12
	v_rcp_f32_e32 v14, v11
	v_fma_f32 v15, -v11, v14, 1.0
	v_fmac_f32_e32 v14, v15, v14
	v_div_scale_f32 v15, vcc, v12, v13, v12
	v_mul_f32_e32 v18, v15, v14
	v_fma_f32 v19, -v11, v18, v15
	v_fmac_f32_e32 v18, v19, v14
	v_fma_f32 v11, -v11, v18, v15
	v_div_fmas_f32 v11, v11, v14, v18
	v_div_fixup_f32 v11, v11, v13, v12
	v_mul_f32_e32 v12, s9, v11
	v_fma_f32 v10, v2, v11, -v10
	v_fma_f32 v11, v3, v11, -v16
	v_mul_f32_e32 v11, v11, v11
	v_sub_f32_e32 v13, v12, v17
	v_fmac_f32_e32 v11, v10, v10
	v_fmac_f32_e32 v11, v13, v13
	s_waitcnt lgkmcnt(0)
	v_cmp_lt_f32_e32 vcc, v11, v4
	v_cmp_lt_f32_e64 s[2:3], v12, v6
	s_and_b64 vcc, vcc, s[2:3]
	v_cndmask_b32_e32 v6, v6, v12, vcc
	s_branch .LBB1_3
.LBB1_13:
	v_mov_b32_e32 v6, 0x60ad78ec
.LBB1_14:
	s_mov_b32 s0, 0x42c80000
	v_cmp_nlt_f32_e32 vcc, s0, v6
	v_mad_u64_u32 v[0:1], s[0:1], v1, s10, v[0:1]
	v_ashrrev_i32_e32 v1, 31, v0
	v_lshlrev_b64 v[0:1], 2, v[0:1]
	v_cndmask_b32_e32 v2, 0, v6, vcc
	s_waitcnt lgkmcnt(0)
	v_mov_b32_e32 v3, s7
	v_add_co_u32_e32 v0, vcc, s6, v0
	v_addc_co_u32_e32 v1, vcc, v3, v1, vcc
	global_store_dword v[0:1], v2, off
.LBB1_15:
	s_endpgm
	.section	.rodata,"a",@progbits
	.p2align	6, 0x0
	.amdhsa_kernel _Z18surfel_render_tileIfLi256EEvPKT_iS0_iiPS0_
		.amdhsa_group_segment_fixed_size 7168
		.amdhsa_private_segment_fixed_size 0
		.amdhsa_kernarg_size 288
		.amdhsa_user_sgpr_count 6
		.amdhsa_user_sgpr_private_segment_buffer 1
		.amdhsa_user_sgpr_dispatch_ptr 0
		.amdhsa_user_sgpr_queue_ptr 0
		.amdhsa_user_sgpr_kernarg_segment_ptr 1
		.amdhsa_user_sgpr_dispatch_id 0
		.amdhsa_user_sgpr_flat_scratch_init 0
		.amdhsa_user_sgpr_kernarg_preload_length 0
		.amdhsa_user_sgpr_kernarg_preload_offset 0
		.amdhsa_user_sgpr_private_segment_size 0
		.amdhsa_uses_dynamic_stack 0
		.amdhsa_system_sgpr_private_segment_wavefront_offset 0
		.amdhsa_system_sgpr_workgroup_id_x 1
		.amdhsa_system_sgpr_workgroup_id_y 1
		.amdhsa_system_sgpr_workgroup_id_z 0
		.amdhsa_system_sgpr_workgroup_info 0
		.amdhsa_system_vgpr_workitem_id 1
		.amdhsa_next_free_vgpr 40
		.amdhsa_next_free_sgpr 17
		.amdhsa_accum_offset 40
		.amdhsa_reserve_vcc 1
		.amdhsa_reserve_flat_scratch 0
		.amdhsa_float_round_mode_32 0
		.amdhsa_float_round_mode_16_64 0
		.amdhsa_float_denorm_mode_32 3
		.amdhsa_float_denorm_mode_16_64 3
		.amdhsa_dx10_clamp 1
		.amdhsa_ieee_mode 1
		.amdhsa_fp16_overflow 0
		.amdhsa_tg_split 0
		.amdhsa_exception_fp_ieee_invalid_op 0
		.amdhsa_exception_fp_denorm_src 0
		.amdhsa_exception_fp_ieee_div_zero 0
		.amdhsa_exception_fp_ieee_overflow 0
		.amdhsa_exception_fp_ieee_underflow 0
		.amdhsa_exception_fp_ieee_inexact 0
		.amdhsa_exception_int_div_zero 0
	.end_amdhsa_kernel
	.section	.text._Z18surfel_render_tileIfLi256EEvPKT_iS0_iiPS0_,"axG",@progbits,_Z18surfel_render_tileIfLi256EEvPKT_iS0_iiPS0_,comdat
.Lfunc_end1:
	.size	_Z18surfel_render_tileIfLi256EEvPKT_iS0_iiPS0_, .Lfunc_end1-_Z18surfel_render_tileIfLi256EEvPKT_iS0_iiPS0_
                                        ; -- End function
	.section	.AMDGPU.csdata,"",@progbits
; Kernel info:
; codeLenInByte = 1212
; NumSgprs: 21
; NumVgprs: 40
; NumAgprs: 0
; TotalNumVgprs: 40
; ScratchSize: 0
; MemoryBound: 0
; FloatMode: 240
; IeeeMode: 1
; LDSByteSize: 7168 bytes/workgroup (compile time only)
; SGPRBlocks: 2
; VGPRBlocks: 4
; NumSGPRsForWavesPerEU: 21
; NumVGPRsForWavesPerEU: 40
; AccumOffset: 40
; Occupancy: 8
; WaveLimiterHint : 0
; COMPUTE_PGM_RSRC2:SCRATCH_EN: 0
; COMPUTE_PGM_RSRC2:USER_SGPR: 6
; COMPUTE_PGM_RSRC2:TRAP_HANDLER: 0
; COMPUTE_PGM_RSRC2:TGID_X_EN: 1
; COMPUTE_PGM_RSRC2:TGID_Y_EN: 1
; COMPUTE_PGM_RSRC2:TGID_Z_EN: 0
; COMPUTE_PGM_RSRC2:TIDIG_COMP_CNT: 1
; COMPUTE_PGM_RSRC3_GFX90A:ACCUM_OFFSET: 9
; COMPUTE_PGM_RSRC3_GFX90A:TG_SPLIT: 0
	.text
	.p2alignl 6, 3212836864
	.fill 256, 4, 3212836864
	.type	__hip_cuid_1130f294ac4997b1,@object ; @__hip_cuid_1130f294ac4997b1
	.section	.bss,"aw",@nobits
	.globl	__hip_cuid_1130f294ac4997b1
__hip_cuid_1130f294ac4997b1:
	.byte	0                               ; 0x0
	.size	__hip_cuid_1130f294ac4997b1, 1

	.ident	"AMD clang version 19.0.0git (https://github.com/RadeonOpenCompute/llvm-project roc-6.4.0 25133 c7fe45cf4b819c5991fe208aaa96edf142730f1d)"
	.section	".note.GNU-stack","",@progbits
	.addrsig
	.addrsig_sym __hip_cuid_1130f294ac4997b1
	.amdgpu_metadata
---
amdhsa.kernels:
  - .agpr_count:     0
    .args:
      - .actual_access:  read_only
        .address_space:  global
        .offset:         0
        .size:           8
        .value_kind:     global_buffer
      - .offset:         8
        .size:           4
        .value_kind:     by_value
      - .offset:         12
        .size:           4
        .value_kind:     by_value
      - .offset:         16
        .size:           4
        .value_kind:     by_value
      - .offset:         20
        .size:           4
        .value_kind:     by_value
      - .actual_access:  write_only
        .address_space:  global
        .offset:         24
        .size:           8
        .value_kind:     global_buffer
      - .offset:         32
        .size:           4
        .value_kind:     hidden_block_count_x
      - .offset:         36
        .size:           4
        .value_kind:     hidden_block_count_y
      - .offset:         40
        .size:           4
        .value_kind:     hidden_block_count_z
      - .offset:         44
        .size:           2
        .value_kind:     hidden_group_size_x
      - .offset:         46
        .size:           2
        .value_kind:     hidden_group_size_y
      - .offset:         48
        .size:           2
        .value_kind:     hidden_group_size_z
      - .offset:         50
        .size:           2
        .value_kind:     hidden_remainder_x
      - .offset:         52
        .size:           2
        .value_kind:     hidden_remainder_y
      - .offset:         54
        .size:           2
        .value_kind:     hidden_remainder_z
      - .offset:         72
        .size:           8
        .value_kind:     hidden_global_offset_x
      - .offset:         80
        .size:           8
        .value_kind:     hidden_global_offset_y
      - .offset:         88
        .size:           8
        .value_kind:     hidden_global_offset_z
      - .offset:         96
        .size:           2
        .value_kind:     hidden_grid_dims
    .group_segment_fixed_size: 0
    .kernarg_segment_align: 8
    .kernarg_segment_size: 288
    .language:       OpenCL C
    .language_version:
      - 2
      - 0
    .max_flat_workgroup_size: 1024
    .name:           _Z13surfel_renderIfEvPKT_iS0_iiPS0_
    .private_segment_fixed_size: 0
    .sgpr_count:     22
    .sgpr_spill_count: 0
    .symbol:         _Z13surfel_renderIfEvPKT_iS0_iiPS0_.kd
    .uniform_work_group_size: 1
    .uses_dynamic_stack: false
    .vgpr_count:     14
    .vgpr_spill_count: 0
    .wavefront_size: 64
  - .agpr_count:     0
    .args:
      - .actual_access:  read_only
        .address_space:  global
        .offset:         0
        .size:           8
        .value_kind:     global_buffer
      - .offset:         8
        .size:           4
        .value_kind:     by_value
      - .offset:         12
        .size:           4
        .value_kind:     by_value
      - .offset:         16
        .size:           4
        .value_kind:     by_value
      - .offset:         20
        .size:           4
        .value_kind:     by_value
      - .actual_access:  write_only
        .address_space:  global
        .offset:         24
        .size:           8
        .value_kind:     global_buffer
      - .offset:         32
        .size:           4
        .value_kind:     hidden_block_count_x
      - .offset:         36
        .size:           4
        .value_kind:     hidden_block_count_y
      - .offset:         40
        .size:           4
        .value_kind:     hidden_block_count_z
      - .offset:         44
        .size:           2
        .value_kind:     hidden_group_size_x
      - .offset:         46
        .size:           2
        .value_kind:     hidden_group_size_y
      - .offset:         48
        .size:           2
        .value_kind:     hidden_group_size_z
      - .offset:         50
        .size:           2
        .value_kind:     hidden_remainder_x
      - .offset:         52
        .size:           2
        .value_kind:     hidden_remainder_y
      - .offset:         54
        .size:           2
        .value_kind:     hidden_remainder_z
      - .offset:         72
        .size:           8
        .value_kind:     hidden_global_offset_x
      - .offset:         80
        .size:           8
        .value_kind:     hidden_global_offset_y
      - .offset:         88
        .size:           8
        .value_kind:     hidden_global_offset_z
      - .offset:         96
        .size:           2
        .value_kind:     hidden_grid_dims
    .group_segment_fixed_size: 7168
    .kernarg_segment_align: 8
    .kernarg_segment_size: 288
    .language:       OpenCL C
    .language_version:
      - 2
      - 0
    .max_flat_workgroup_size: 1024
    .name:           _Z18surfel_render_tileIfLi256EEvPKT_iS0_iiPS0_
    .private_segment_fixed_size: 0
    .sgpr_count:     21
    .sgpr_spill_count: 0
    .symbol:         _Z18surfel_render_tileIfLi256EEvPKT_iS0_iiPS0_.kd
    .uniform_work_group_size: 1
    .uses_dynamic_stack: false
    .vgpr_count:     40
    .vgpr_spill_count: 0
    .wavefront_size: 64
amdhsa.target:   amdgcn-amd-amdhsa--gfx90a
amdhsa.version:
  - 1
  - 2
...

	.end_amdgpu_metadata
